;; amdgpu-corpus repo=zjin-lcf/HeCBench kind=compiled arch=gfx1250 opt=O3
	.amdgcn_target "amdgcn-amd-amdhsa--gfx1250"
	.amdhsa_code_object_version 6
	.text
	.protected	_Z15sobolGPU_kerneljjPjPf ; -- Begin function _Z15sobolGPU_kerneljjPjPf
	.globl	_Z15sobolGPU_kerneljjPjPf
	.p2align	8
	.type	_Z15sobolGPU_kerneljjPjPf,@function
_Z15sobolGPU_kerneljjPjPf:              ; @_Z15sobolGPU_kerneljjPjPf
; %bb.0:
	s_bfe_u32 s2, ttmp6, 0x40010
	s_bfe_u32 s3, ttmp6, 0x40004
	s_add_co_i32 s2, s2, 1
	s_getreg_b32 s4, hwreg(HW_REG_IB_STS2, 6, 4)
	s_mul_i32 s2, ttmp7, s2
	s_mov_b32 s5, exec_lo
	s_add_co_i32 s2, s3, s2
	s_cmp_eq_u32 s4, 0
	s_mov_b32 s3, 0
	s_cselect_b32 s7, ttmp7, s2
	v_cmpx_gt_u32_e32 32, v0
	s_cbranch_execz .LBB0_2
; %bb.1:
	s_load_b64 s[8:9], s[0:1], 0x8
	s_lshl_b32 s2, s7, 5
	v_lshlrev_b32_e32 v2, 2, v0
	s_lshl_b64 s[2:3], s[2:3], 2
	s_wait_kmcnt 0x0
	s_add_nc_u64 s[2:3], s[8:9], s[2:3]
	global_load_b32 v1, v0, s[2:3] scale_offset
	s_wait_loadcnt 0x0
	ds_store_b32 v2, v1
.LBB0_2:
	s_or_b32 exec_lo, exec_lo, s5
	s_wait_dscnt 0x0
	s_barrier_signal -1
	s_barrier_wait -1
	s_clause 0x1
	s_load_b32 s2, s[0:1], 0x24
	s_load_b32 s6, s[0:1], 0x18
	s_bfe_u32 s3, ttmp6, 0x4000c
	s_and_b32 s5, ttmp6, 15
	s_add_co_i32 s3, s3, 1
	s_delay_alu instid0(SALU_CYCLE_1) | instskip(NEXT) | instid1(SALU_CYCLE_1)
	s_mul_i32 s3, ttmp9, s3
	s_add_co_i32 s5, s5, s3
	s_cmp_eq_u32 s4, 0
	s_cselect_b32 s9, ttmp9, s5
	s_wait_kmcnt 0x0
	s_and_b32 s8, s2, 0xffff
	s_delay_alu instid0(SALU_CYCLE_1)
	s_mul_i32 s4, s6, s8
	s_mul_i32 s5, s9, s8
	s_ctz_i32_b32 s2, s4
	v_add_nc_u32_e32 v2, s5, v0
	s_add_co_i32 s2, s2, 1
	s_cmp_lg_u32 s4, 0
	s_cselect_b32 s10, s2, 0
	s_delay_alu instid0(SALU_CYCLE_1) | instskip(NEXT) | instid1(SALU_CYCLE_1)
	s_add_co_i32 s2, s10, -1
	s_cmp_eq_u32 s2, 0
	s_cbranch_scc1 .LBB0_7
; %bb.3:
	v_ashrrev_i32_e32 v1, 1, v2
	s_add_co_i32 s3, s10, -2
	s_delay_alu instid0(SALU_CYCLE_1) | instskip(NEXT) | instid1(VALU_DEP_1)
	s_cmp_lt_u32 s3, 7
	v_xor_b32_e32 v3, v1, v2
	s_cbranch_scc1 .LBB0_8
; %bb.4:
	v_mov_b32_e32 v1, 0
	s_and_b32 s3, s2, -8
	s_mov_b32 s11, 0
	s_mov_b32 s12, 0
.LBB0_5:                                ; =>This Inner Loop Header: Depth=1
	s_delay_alu instid0(VALU_DEP_3)
	v_bfe_i32 v12, v3, 0, 1
	v_mov_b32_e32 v8, s11
	v_bfe_i32 v13, v3, 1, 1
	v_bfe_i32 v14, v3, 2, 1
	;; [unrolled: 1-line block ×3, first 2 shown]
	ds_load_b128 v[4:7], v8
	ds_load_b128 v[8:11], v8 offset:16
	s_add_co_i32 s12, s12, 8
	s_add_co_i32 s11, s11, 32
	s_cmp_eq_u32 s3, s12
	s_wait_dscnt 0x1
	v_and_b32_e32 v4, v12, v4
	v_and_b32_e32 v5, v13, v5
	v_bfe_i32 v12, v3, 4, 1
	v_bfe_i32 v13, v3, 5, 1
	v_and_b32_e32 v6, v14, v6
	v_and_b32_e32 v7, v15, v7
	v_xor3_b32 v1, v4, v1, v5
	v_bfe_i32 v4, v3, 6, 1
	v_bfe_i32 v5, v3, 7, 1
	s_wait_dscnt 0x0
	v_and_b32_e32 v8, v12, v8
	v_and_b32_e32 v9, v13, v9
	v_xor3_b32 v1, v6, v1, v7
	v_and_b32_e32 v4, v4, v10
	v_and_b32_e32 v5, v5, v11
	v_lshrrev_b32_e32 v3, 8, v3
	s_delay_alu instid0(VALU_DEP_4) | instskip(NEXT) | instid1(VALU_DEP_1)
	v_xor3_b32 v1, v8, v1, v9
	v_xor3_b32 v1, v4, v1, v5
	s_cbranch_scc0 .LBB0_5
; %bb.6:
	s_and_b32 s2, s2, 7
	s_delay_alu instid0(SALU_CYCLE_1)
	s_cmp_eq_u32 s2, 0
	s_cbranch_scc0 .LBB0_9
	s_branch .LBB0_11
.LBB0_7:
	v_mov_b32_e32 v1, 0
	s_branch .LBB0_11
.LBB0_8:
	v_mov_b32_e32 v1, 0
	s_mov_b32 s3, 0
	s_and_b32 s2, s2, 7
	s_delay_alu instid0(SALU_CYCLE_1)
	s_cmp_eq_u32 s2, 0
	s_cbranch_scc1 .LBB0_11
.LBB0_9:
	s_lshl_b32 s3, s3, 2
.LBB0_10:                               ; =>This Inner Loop Header: Depth=1
	s_delay_alu instid0(SALU_CYCLE_1)
	v_mov_b32_e32 v4, s3
	v_bfe_i32 v5, v3, 0, 1
	v_lshrrev_b32_e32 v3, 1, v3
	s_add_co_i32 s2, s2, -1
	s_add_co_i32 s3, s3, 4
	ds_load_b32 v4, v4
	s_cmp_lg_u32 s2, 0
	s_wait_dscnt 0x0
	v_bitop3_b32 v1, v5, v1, v4 bitop3:0x6c
	s_cbranch_scc1 .LBB0_10
.LBB0_11:
	s_clause 0x1
	s_load_b64 s[2:3], s[0:1], 0x10
	s_load_b32 s11, s[0:1], 0x0
	s_wait_xcnt 0x0
	s_mov_b32 s1, 0
	s_wait_kmcnt 0x0
	s_mul_i32 s0, s11, s7
	s_delay_alu instid0(SALU_CYCLE_1) | instskip(NEXT) | instid1(SALU_CYCLE_1)
	s_lshl_b64 s[0:1], s[0:1], 2
	s_add_nc_u64 s[0:1], s[2:3], s[0:1]
	s_mov_b32 s2, exec_lo
	v_cmpx_gt_u32_e64 s11, v2
	s_cbranch_execz .LBB0_13
; %bb.12:
	v_cvt_f32_u32_e32 v3, v1
	s_delay_alu instid0(VALU_DEP_1)
	v_mul_f32_e32 v3, 0x2f800000, v3
	global_store_b32 v2, v3, s[0:1] scale_offset
.LBB0_13:
	s_wait_xcnt 0x0
	s_or_b32 exec_lo, exec_lo, s2
	v_add_nc_u32_e32 v2, s4, v2
	s_mov_b32 s2, exec_lo
	s_delay_alu instid0(VALU_DEP_1)
	v_cmpx_gt_u32_e64 s11, v2
	s_cbranch_execz .LBB0_16
; %bb.14:
	s_lshl_b32 s2, s10, 2
	s_add_co_i32 s3, s9, s6
	s_add_co_i32 s2, s2, -8
	s_mul_i32 s3, s3, s8
	v_mov_b32_e32 v2, s2
	s_add_co_i32 s2, s4, -1
	s_mov_b32 s6, 0
	ds_load_b32 v2, v2
.LBB0_15:                               ; =>This Inner Loop Header: Depth=1
	v_add_nc_u32_e32 v3, s5, v0
	s_delay_alu instid0(VALU_DEP_1) | instskip(NEXT) | instid1(VALU_DEP_1)
	v_bitop3_b32 v4, v3, s2, v3 bitop3:3
	v_ctz_i32_b32_e32 v4, v4
	s_delay_alu instid0(VALU_DEP_1) | instskip(NEXT) | instid1(VALU_DEP_1)
	v_dual_add_nc_u32 v4, 1, v4 :: v_dual_bitop2_b32 v3, s2, v3 bitop3:0x54
	v_cmp_ne_u32_e32 vcc_lo, -1, v3
	s_delay_alu instid0(VALU_DEP_2) | instskip(SKIP_1) | instid1(VALU_DEP_2)
	v_cndmask_b32_e32 v3, 0, v4, vcc_lo
	v_add_nc_u32_e32 v4, s3, v0
	v_lshl_add_u32 v3, v3, 2, -4
	ds_load_b32 v3, v3
	s_wait_dscnt 0x0
	v_xor3_b32 v1, v1, v2, v3
	s_delay_alu instid0(VALU_DEP_1) | instskip(SKIP_1) | instid1(VALU_DEP_1)
	v_cvt_f32_u32_e32 v5, v1
	v_add_nc_u32_e32 v0, s4, v0
	v_add_nc_u32_e32 v3, s3, v0
	s_delay_alu instid0(VALU_DEP_1) | instskip(NEXT) | instid1(VALU_DEP_4)
	v_cmp_le_u32_e32 vcc_lo, s11, v3
	v_mul_f32_e32 v3, 0x2f800000, v5
	s_or_b32 s6, vcc_lo, s6
	global_store_b32 v4, v3, s[0:1] scale_offset
	s_wait_xcnt 0x0
	s_and_not1_b32 exec_lo, exec_lo, s6
	s_cbranch_execnz .LBB0_15
.LBB0_16:
	s_endpgm
	.section	.rodata,"a",@progbits
	.p2align	6, 0x0
	.amdhsa_kernel _Z15sobolGPU_kerneljjPjPf
		.amdhsa_group_segment_fixed_size 128
		.amdhsa_private_segment_fixed_size 0
		.amdhsa_kernarg_size 280
		.amdhsa_user_sgpr_count 2
		.amdhsa_user_sgpr_dispatch_ptr 0
		.amdhsa_user_sgpr_queue_ptr 0
		.amdhsa_user_sgpr_kernarg_segment_ptr 1
		.amdhsa_user_sgpr_dispatch_id 0
		.amdhsa_user_sgpr_kernarg_preload_length 0
		.amdhsa_user_sgpr_kernarg_preload_offset 0
		.amdhsa_user_sgpr_private_segment_size 0
		.amdhsa_wavefront_size32 1
		.amdhsa_uses_dynamic_stack 0
		.amdhsa_enable_private_segment 0
		.amdhsa_system_sgpr_workgroup_id_x 1
		.amdhsa_system_sgpr_workgroup_id_y 1
		.amdhsa_system_sgpr_workgroup_id_z 0
		.amdhsa_system_sgpr_workgroup_info 0
		.amdhsa_system_vgpr_workitem_id 0
		.amdhsa_next_free_vgpr 16
		.amdhsa_next_free_sgpr 13
		.amdhsa_named_barrier_count 0
		.amdhsa_reserve_vcc 1
		.amdhsa_float_round_mode_32 0
		.amdhsa_float_round_mode_16_64 0
		.amdhsa_float_denorm_mode_32 3
		.amdhsa_float_denorm_mode_16_64 3
		.amdhsa_fp16_overflow 0
		.amdhsa_memory_ordered 1
		.amdhsa_forward_progress 1
		.amdhsa_inst_pref_size 7
		.amdhsa_round_robin_scheduling 0
		.amdhsa_exception_fp_ieee_invalid_op 0
		.amdhsa_exception_fp_denorm_src 0
		.amdhsa_exception_fp_ieee_div_zero 0
		.amdhsa_exception_fp_ieee_overflow 0
		.amdhsa_exception_fp_ieee_underflow 0
		.amdhsa_exception_fp_ieee_inexact 0
		.amdhsa_exception_int_div_zero 0
	.end_amdhsa_kernel
	.text
.Lfunc_end0:
	.size	_Z15sobolGPU_kerneljjPjPf, .Lfunc_end0-_Z15sobolGPU_kerneljjPjPf
                                        ; -- End function
	.set _Z15sobolGPU_kerneljjPjPf.num_vgpr, 16
	.set _Z15sobolGPU_kerneljjPjPf.num_agpr, 0
	.set _Z15sobolGPU_kerneljjPjPf.numbered_sgpr, 13
	.set _Z15sobolGPU_kerneljjPjPf.num_named_barrier, 0
	.set _Z15sobolGPU_kerneljjPjPf.private_seg_size, 0
	.set _Z15sobolGPU_kerneljjPjPf.uses_vcc, 1
	.set _Z15sobolGPU_kerneljjPjPf.uses_flat_scratch, 0
	.set _Z15sobolGPU_kerneljjPjPf.has_dyn_sized_stack, 0
	.set _Z15sobolGPU_kerneljjPjPf.has_recursion, 0
	.set _Z15sobolGPU_kerneljjPjPf.has_indirect_call, 0
	.section	.AMDGPU.csdata,"",@progbits
; Kernel info:
; codeLenInByte = 880
; TotalNumSgprs: 15
; NumVgprs: 16
; ScratchSize: 0
; MemoryBound: 0
; FloatMode: 240
; IeeeMode: 1
; LDSByteSize: 128 bytes/workgroup (compile time only)
; SGPRBlocks: 0
; VGPRBlocks: 0
; NumSGPRsForWavesPerEU: 15
; NumVGPRsForWavesPerEU: 16
; NamedBarCnt: 0
; Occupancy: 16
; WaveLimiterHint : 0
; COMPUTE_PGM_RSRC2:SCRATCH_EN: 0
; COMPUTE_PGM_RSRC2:USER_SGPR: 2
; COMPUTE_PGM_RSRC2:TRAP_HANDLER: 0
; COMPUTE_PGM_RSRC2:TGID_X_EN: 1
; COMPUTE_PGM_RSRC2:TGID_Y_EN: 1
; COMPUTE_PGM_RSRC2:TGID_Z_EN: 0
; COMPUTE_PGM_RSRC2:TIDIG_COMP_CNT: 0
	.text
	.p2alignl 7, 3214868480
	.fill 96, 4, 3214868480
	.section	.AMDGPU.gpr_maximums,"",@progbits
	.set amdgpu.max_num_vgpr, 0
	.set amdgpu.max_num_agpr, 0
	.set amdgpu.max_num_sgpr, 0
	.text
	.type	__hip_cuid_e15264159498b9bb,@object ; @__hip_cuid_e15264159498b9bb
	.section	.bss,"aw",@nobits
	.globl	__hip_cuid_e15264159498b9bb
__hip_cuid_e15264159498b9bb:
	.byte	0                               ; 0x0
	.size	__hip_cuid_e15264159498b9bb, 1

	.ident	"AMD clang version 22.0.0git (https://github.com/RadeonOpenCompute/llvm-project roc-7.2.4 26084 f58b06dce1f9c15707c5f808fd002e18c2accf7e)"
	.section	".note.GNU-stack","",@progbits
	.addrsig
	.addrsig_sym __hip_cuid_e15264159498b9bb
	.amdgpu_metadata
---
amdhsa.kernels:
  - .args:
      - .offset:         0
        .size:           4
        .value_kind:     by_value
      - .offset:         4
        .size:           4
        .value_kind:     by_value
      - .actual_access:  read_only
        .address_space:  global
        .offset:         8
        .size:           8
        .value_kind:     global_buffer
      - .actual_access:  write_only
        .address_space:  global
        .offset:         16
        .size:           8
        .value_kind:     global_buffer
      - .offset:         24
        .size:           4
        .value_kind:     hidden_block_count_x
      - .offset:         28
        .size:           4
        .value_kind:     hidden_block_count_y
      - .offset:         32
        .size:           4
        .value_kind:     hidden_block_count_z
      - .offset:         36
        .size:           2
        .value_kind:     hidden_group_size_x
      - .offset:         38
        .size:           2
        .value_kind:     hidden_group_size_y
      - .offset:         40
        .size:           2
        .value_kind:     hidden_group_size_z
      - .offset:         42
        .size:           2
        .value_kind:     hidden_remainder_x
      - .offset:         44
        .size:           2
        .value_kind:     hidden_remainder_y
      - .offset:         46
        .size:           2
        .value_kind:     hidden_remainder_z
      - .offset:         64
        .size:           8
        .value_kind:     hidden_global_offset_x
      - .offset:         72
        .size:           8
        .value_kind:     hidden_global_offset_y
      - .offset:         80
        .size:           8
        .value_kind:     hidden_global_offset_z
      - .offset:         88
        .size:           2
        .value_kind:     hidden_grid_dims
    .group_segment_fixed_size: 128
    .kernarg_segment_align: 8
    .kernarg_segment_size: 280
    .language:       OpenCL C
    .language_version:
      - 2
      - 0
    .max_flat_workgroup_size: 1024
    .name:           _Z15sobolGPU_kerneljjPjPf
    .private_segment_fixed_size: 0
    .sgpr_count:     15
    .sgpr_spill_count: 0
    .symbol:         _Z15sobolGPU_kerneljjPjPf.kd
    .uniform_work_group_size: 1
    .uses_dynamic_stack: false
    .vgpr_count:     16
    .vgpr_spill_count: 0
    .wavefront_size: 32
amdhsa.target:   amdgcn-amd-amdhsa--gfx1250
amdhsa.version:
  - 1
  - 2
...

	.end_amdgpu_metadata
